;; amdgpu-corpus repo=ROCm/rocFFT kind=compiled arch=gfx1030 opt=O3
	.text
	.amdgcn_target "amdgcn-amd-amdhsa--gfx1030"
	.amdhsa_code_object_version 6
	.protected	bluestein_single_back_len484_dim1_sp_op_CI_CI ; -- Begin function bluestein_single_back_len484_dim1_sp_op_CI_CI
	.globl	bluestein_single_back_len484_dim1_sp_op_CI_CI
	.p2align	8
	.type	bluestein_single_back_len484_dim1_sp_op_CI_CI,@function
bluestein_single_back_len484_dim1_sp_op_CI_CI: ; @bluestein_single_back_len484_dim1_sp_op_CI_CI
; %bb.0:
	s_load_dwordx4 s[8:11], s[4:5], 0x28
	v_mul_u32_u24_e32 v1, 0x5d2, v0
	v_mov_b32_e32 v71, 0
	s_mov_b32 s0, exec_lo
	v_lshrrev_b32_e32 v1, 16, v1
	v_add_nc_u32_e32 v70, s6, v1
	s_waitcnt lgkmcnt(0)
	v_cmpx_gt_u64_e64 s[8:9], v[70:71]
	s_cbranch_execz .LBB0_15
; %bb.1:
	s_load_dwordx4 s[0:3], s[4:5], 0x18
	v_mul_lo_u16 v1, v1, 44
	v_sub_nc_u16 v22, v0, v1
	v_and_b32_e32 v86, 0xffff, v22
	v_lshlrev_b32_e32 v85, 3, v86
	s_waitcnt lgkmcnt(0)
	s_load_dwordx4 s[12:15], s[0:1], 0x0
	s_load_dwordx2 s[0:1], s[4:5], 0x0
	s_waitcnt lgkmcnt(0)
	s_clause 0x2
	global_load_dwordx2 v[81:82], v85, s[0:1]
	global_load_dwordx2 v[79:80], v85, s[0:1] offset:1936
	global_load_dwordx2 v[68:69], v85, s[0:1] offset:1320
	v_mad_u64_u32 v[0:1], null, s14, v70, 0
	v_mad_u64_u32 v[2:3], null, s12, v86, 0
	v_add_co_u32 v64, s6, s0, v85
	v_add_co_ci_u32_e64 v65, null, s1, 0, s6
	s_mul_hi_u32 s7, s12, 0x79
	v_add_co_u32 v66, vcc_lo, 0x800, v64
	v_mad_u64_u32 v[4:5], null, s15, v70, v[1:2]
	v_add_co_ci_u32_e32 v67, vcc_lo, 0, v65, vcc_lo
	s_clause 0x2
	global_load_dwordx2 v[83:84], v85, s[0:1] offset:968
	global_load_dwordx2 v[71:72], v85, s[0:1] offset:352
	global_load_dwordx2 v[73:74], v[66:67], off offset:856
	s_mul_i32 s1, s13, 0x79
	s_mul_i32 s0, s12, 0x79
	v_mad_u64_u32 v[5:6], null, s13, v86, v[3:4]
	v_mov_b32_e32 v1, v4
	s_mul_hi_u32 s9, s12, 0xfffffec1
	s_add_i32 s1, s7, s1
	s_mul_i32 s8, s13, 0xfffffec1
	s_mul_i32 s6, s12, 0xfffffec1
	v_lshlrev_b64 v[0:1], 3, v[0:1]
	v_mov_b32_e32 v3, v5
	s_sub_i32 s7, s9, s12
	s_lshl_b64 s[12:13], s[0:1], 3
	s_add_i32 s7, s7, s8
	v_lshlrev_b64 v[2:3], 3, v[2:3]
	v_add_co_u32 v0, vcc_lo, s10, v0
	v_add_co_ci_u32_e32 v1, vcc_lo, s11, v1, vcc_lo
	s_lshl_b64 s[0:1], s[6:7], 3
	v_add_co_u32 v0, vcc_lo, v0, v2
	v_add_co_ci_u32_e32 v1, vcc_lo, v1, v3, vcc_lo
	s_load_dwordx2 s[6:7], s[4:5], 0x38
	v_add_co_u32 v2, vcc_lo, v0, s12
	v_add_co_ci_u32_e32 v3, vcc_lo, s13, v1, vcc_lo
	v_add_co_u32 v4, vcc_lo, v2, s12
	v_add_co_ci_u32_e32 v5, vcc_lo, s13, v3, vcc_lo
	s_clause 0x1
	global_load_dwordx2 v[6:7], v[0:1], off
	global_load_dwordx2 v[2:3], v[2:3], off
	v_add_co_u32 v0, vcc_lo, v4, s12
	v_add_co_ci_u32_e32 v1, vcc_lo, s13, v5, vcc_lo
	s_clause 0x1
	global_load_dwordx2 v[4:5], v[4:5], off
	global_load_dwordx2 v[10:11], v[0:1], off
	v_add_co_u32 v8, vcc_lo, v0, s0
	v_add_co_ci_u32_e32 v9, vcc_lo, s1, v1, vcc_lo
	v_add_co_u32 v0, vcc_lo, v8, s12
	v_add_co_ci_u32_e32 v1, vcc_lo, s13, v9, vcc_lo
	global_load_dwordx2 v[8:9], v[8:9], off
	v_add_co_u32 v12, vcc_lo, v0, s12
	v_add_co_ci_u32_e32 v13, vcc_lo, s13, v1, vcc_lo
	global_load_dwordx2 v[14:15], v[0:1], off
	v_add_co_u32 v0, vcc_lo, v12, s12
	v_add_co_ci_u32_e32 v1, vcc_lo, s13, v13, vcc_lo
	s_clause 0x1
	global_load_dwordx2 v[75:76], v[66:67], off offset:1208
	global_load_dwordx2 v[77:78], v[66:67], off offset:240
	global_load_dwordx2 v[12:13], v[12:13], off
	global_load_dwordx2 v[16:17], v[0:1], off
	s_load_dwordx4 s[8:11], s[2:3], 0x0
	v_cmp_gt_u16_e32 vcc_lo, 33, v22
	s_waitcnt vmcnt(9)
	v_mul_f32_e32 v18, v7, v82
	s_waitcnt vmcnt(8)
	v_mul_f32_e32 v20, v3, v84
	v_mul_f32_e32 v21, v2, v84
	;; [unrolled: 1-line block ×3, first 2 shown]
	v_fmac_f32_e32 v18, v6, v81
	v_fmac_f32_e32 v20, v2, v83
	v_fma_f32 v21, v3, v83, -v21
	s_waitcnt vmcnt(7)
	v_mul_f32_e32 v2, v5, v80
	v_mul_f32_e32 v3, v4, v80
	v_fma_f32 v19, v7, v81, -v19
	s_waitcnt vmcnt(6)
	v_mul_f32_e32 v6, v11, v74
	v_mul_f32_e32 v7, v10, v74
	v_fmac_f32_e32 v2, v4, v79
	v_fma_f32 v3, v5, v79, -v3
	ds_write_b64 v85, v[20:21] offset:968
	v_fmac_f32_e32 v6, v10, v73
	v_fma_f32 v7, v11, v73, -v7
	s_waitcnt vmcnt(5)
	v_mul_f32_e32 v4, v9, v72
	v_mul_f32_e32 v5, v8, v72
	ds_write_b64 v85, v[2:3] offset:1936
	ds_write_b64 v85, v[6:7] offset:2904
	s_waitcnt vmcnt(4)
	v_mul_f32_e32 v2, v15, v69
	v_mul_f32_e32 v3, v14, v69
	v_fmac_f32_e32 v4, v8, v71
	v_fma_f32 v5, v9, v71, -v5
	s_waitcnt vmcnt(1)
	v_mul_f32_e32 v6, v13, v78
	v_mul_f32_e32 v7, v12, v78
	s_waitcnt vmcnt(0)
	v_mul_f32_e32 v8, v17, v76
	v_mul_f32_e32 v9, v16, v76
	v_fmac_f32_e32 v2, v14, v68
	v_fma_f32 v3, v15, v68, -v3
	v_fmac_f32_e32 v6, v12, v77
	v_fma_f32 v7, v13, v77, -v7
	;; [unrolled: 2-line block ×3, first 2 shown]
	ds_write2_b64 v85, v[18:19], v[4:5] offset1:44
	ds_write_b64 v85, v[2:3] offset:1320
	ds_write_b64 v85, v[6:7] offset:2288
	;; [unrolled: 1-line block ×3, first 2 shown]
	s_and_saveexec_b32 s2, vcc_lo
	s_cbranch_execz .LBB0_3
; %bb.2:
	v_add_co_u32 v0, s0, v0, s0
	v_add_co_ci_u32_e64 v1, s0, s1, v1, s0
	v_add_co_u32 v2, s0, v0, s12
	v_add_co_ci_u32_e64 v3, s0, s13, v1, s0
	global_load_dwordx2 v[4:5], v[64:65], off offset:704
	global_load_dwordx2 v[0:1], v[0:1], off
	global_load_dwordx2 v[6:7], v[2:3], off
	v_add_co_u32 v2, s0, v2, s12
	v_add_co_ci_u32_e64 v3, s0, s13, v3, s0
	global_load_dwordx2 v[8:9], v[64:65], off offset:1672
	v_add_co_u32 v10, s0, v2, s12
	v_add_co_ci_u32_e64 v11, s0, s13, v3, s0
	global_load_dwordx2 v[2:3], v[2:3], off
	s_clause 0x1
	global_load_dwordx2 v[12:13], v[66:67], off offset:592
	global_load_dwordx2 v[14:15], v[66:67], off offset:1560
	global_load_dwordx2 v[10:11], v[10:11], off
	s_waitcnt vmcnt(6)
	v_mul_f32_e32 v17, v0, v5
	v_mul_f32_e32 v16, v1, v5
	v_fma_f32 v17, v1, v4, -v17
	s_waitcnt vmcnt(4)
	v_mul_f32_e32 v5, v7, v9
	v_mul_f32_e32 v1, v6, v9
	v_fmac_f32_e32 v16, v0, v4
	s_waitcnt vmcnt(2)
	v_mul_f32_e32 v0, v3, v13
	v_mul_f32_e32 v4, v2, v13
	s_waitcnt vmcnt(0)
	v_mul_f32_e32 v9, v11, v15
	v_mul_f32_e32 v13, v10, v15
	v_fmac_f32_e32 v5, v6, v8
	v_fma_f32 v6, v7, v8, -v1
	v_fmac_f32_e32 v0, v2, v12
	v_fma_f32 v1, v3, v12, -v4
	;; [unrolled: 2-line block ×3, first 2 shown]
	v_add_nc_u32_e32 v2, 0x800, v85
	ds_write2_b64 v85, v[16:17], v[5:6] offset0:88 offset1:209
	ds_write2_b64 v2, v[0:1], v[9:10] offset0:74 offset1:195
.LBB0_3:
	s_or_b32 exec_lo, exec_lo, s2
	v_add_nc_u32_e32 v0, 0x400, v85
	v_add_nc_u32_e32 v4, 0x800, v85
	s_waitcnt lgkmcnt(0)
	s_barrier
	buffer_gl0_inv
	ds_read2_b64 v[12:15], v85 offset1:44
	ds_read2_b64 v[8:11], v85 offset0:121 offset1:165
	ds_read2_b64 v[20:23], v0 offset0:114 offset1:158
	ds_read2_b64 v[16:19], v4 offset0:107 offset1:151
	s_load_dwordx2 s[0:1], s[4:5], 0x8
                                        ; implicit-def: $vgpr6
                                        ; implicit-def: $vgpr2
	s_and_saveexec_b32 s2, vcc_lo
	s_cbranch_execz .LBB0_5
; %bb.4:
	ds_read2_b64 v[0:3], v85 offset0:88 offset1:209
	ds_read2_b64 v[4:7], v4 offset0:74 offset1:195
.LBB0_5:
	s_or_b32 exec_lo, exec_lo, s2
	s_waitcnt lgkmcnt(0)
	v_sub_f32_e32 v22, v14, v22
	v_sub_f32_e32 v26, v10, v18
	;; [unrolled: 1-line block ×8, first 2 shown]
	v_fma_f32 v19, v14, 2.0, -v22
	v_fma_f32 v14, v10, 2.0, -v26
	;; [unrolled: 1-line block ×8, first 2 shown]
	v_sub_f32_e32 v10, v20, v17
	v_add_f32_e32 v11, v21, v16
	v_sub_f32_e32 v16, v19, v14
	v_add_co_u32 v28, null, 0x58, v86
	v_sub_f32_e32 v8, v12, v8
	v_sub_f32_e32 v9, v13, v9
	;; [unrolled: 1-line block ×3, first 2 shown]
	v_fma_f32 v14, v20, 2.0, -v10
	v_fma_f32 v15, v21, 2.0, -v11
	;; [unrolled: 1-line block ×3, first 2 shown]
	v_sub_f32_e32 v18, v22, v18
	v_add_f32_e32 v19, v23, v26
	v_sub_f32_e32 v4, v0, v4
	v_sub_f32_e32 v5, v1, v5
	;; [unrolled: 1-line block ×4, first 2 shown]
	v_lshlrev_b16 v20, 2, v86
	v_mov_b32_e32 v21, 3
	v_lshlrev_b32_e32 v89, 5, v86
	v_fma_f32 v12, v12, 2.0, -v8
	v_fma_f32 v13, v13, 2.0, -v9
	;; [unrolled: 1-line block ×4, first 2 shown]
	v_sub_f32_e32 v22, v4, v7
	v_add_f32_e32 v23, v6, v5
	v_lshlrev_b32_sdwa v88, v21, v20 dst_sel:DWORD dst_unused:UNUSED_PAD src0_sel:DWORD src1_sel:WORD_0
	v_lshlrev_b32_e32 v87, 5, v28
	v_fma_f32 v25, v25, 2.0, -v17
	s_barrier
	buffer_gl0_inv
	ds_write_b128 v88, v[12:15]
	ds_write_b128 v88, v[8:11] offset:16
	ds_write_b128 v89, v[24:27] offset:1408
	;; [unrolled: 1-line block ×3, first 2 shown]
	s_and_saveexec_b32 s2, vcc_lo
	s_cbranch_execz .LBB0_7
; %bb.6:
	v_fma_f32 v1, v1, 2.0, -v5
	v_fma_f32 v3, v3, 2.0, -v7
	;; [unrolled: 1-line block ×4, first 2 shown]
	v_sub_f32_e32 v21, v1, v3
	v_fma_f32 v3, v5, 2.0, -v23
	v_sub_f32_e32 v20, v0, v2
	v_fma_f32 v2, v4, 2.0, -v22
	v_fma_f32 v1, v1, 2.0, -v21
	;; [unrolled: 1-line block ×3, first 2 shown]
	ds_write_b128 v87, v[0:3]
	ds_write_b128 v87, v[20:23] offset:16
.LBB0_7:
	s_or_b32 exec_lo, exec_lo, s2
	v_and_b32_e32 v20, 3, v86
	s_waitcnt lgkmcnt(0)
	s_barrier
	buffer_gl0_inv
	v_add_nc_u32_e32 v56, 0x800, v85
	v_mul_u32_u24_e32 v0, 10, v20
	v_lshrrev_b32_e32 v21, 2, v86
	v_lshlrev_b32_e32 v16, 3, v0
	v_mul_u32_u24_e32 v21, 44, v21
	s_clause 0x4
	global_load_dwordx4 v[12:15], v16, s[0:1]
	global_load_dwordx4 v[8:11], v16, s[0:1] offset:16
	global_load_dwordx4 v[4:7], v16, s[0:1] offset:32
	;; [unrolled: 1-line block ×4, first 2 shown]
	ds_read2_b64 v[24:27], v85 offset1:44
	ds_read2_b64 v[28:31], v85 offset0:88 offset1:132
	ds_read2_b64 v[32:35], v85 offset0:176 offset1:220
	;; [unrolled: 1-line block ×3, first 2 shown]
	ds_read_b64 v[44:45], v85 offset:3520
	ds_read2_b64 v[40:43], v56 offset0:96 offset1:140
	v_or_b32_e32 v46, v21, v20
	v_mad_u64_u32 v[20:21], null, 0x50, v86, s[0:1]
	s_waitcnt vmcnt(0) lgkmcnt(0)
	s_barrier
	v_lshlrev_b32_e32 v90, 3, v46
	buffer_gl0_inv
	v_mul_f32_e32 v46, v26, v13
	v_mul_f32_e32 v92, v27, v13
	;; [unrolled: 1-line block ×20, first 2 shown]
	v_fmac_f32_e32 v46, v27, v12
	v_fmac_f32_e32 v63, v45, v18
	v_fma_f32 v26, v26, v12, -v92
	v_fma_f32 v44, v44, v18, -v93
	;; [unrolled: 1-line block ×3, first 2 shown]
	v_fmac_f32_e32 v48, v29, v14
	v_fma_f32 v29, v30, v8, -v49
	v_fmac_f32_e32 v50, v31, v8
	v_fma_f32 v30, v32, v10, -v51
	;; [unrolled: 2-line block ×7, first 2 shown]
	v_fmac_f32_e32 v91, v43, v16
	v_sub_f32_e32 v27, v46, v63
	v_add_f32_e32 v34, v26, v44
	v_sub_f32_e32 v35, v26, v44
	v_add_f32_e32 v26, v24, v26
	v_add_f32_e32 v37, v25, v46
	;; [unrolled: 1-line block ×3, first 2 shown]
	v_sub_f32_e32 v38, v48, v91
	v_add_f32_e32 v40, v28, v42
	v_sub_f32_e32 v41, v28, v42
	v_sub_f32_e32 v45, v50, v61
	;; [unrolled: 1-line block ×7, first 2 shown]
	v_mul_f32_e32 v94, 0xbf0a6770, v27
	v_mul_f32_e32 v95, 0xbf68dda4, v27
	;; [unrolled: 1-line block ×10, first 2 shown]
	v_add_f32_e32 v26, v26, v28
	v_add_f32_e32 v28, v37, v48
	;; [unrolled: 1-line block ×9, first 2 shown]
	v_mul_f32_e32 v102, 0xbf68dda4, v38
	v_mul_f32_e32 v103, 0xbf68dda4, v41
	;; [unrolled: 1-line block ×40, first 2 shown]
	v_fma_f32 v132, 0x3f575c64, v34, -v94
	v_fmac_f32_e32 v94, 0x3f575c64, v34
	v_fma_f32 v133, 0x3ed4b147, v34, -v95
	v_fmac_f32_e32 v95, 0x3ed4b147, v34
	;; [unrolled: 2-line block ×5, first 2 shown]
	v_fmamk_f32 v34, v36, 0x3f575c64, v98
	v_fma_f32 v98, 0x3f575c64, v36, -v98
	v_fmamk_f32 v137, v36, 0x3ed4b147, v99
	v_fma_f32 v99, 0x3ed4b147, v36, -v99
	;; [unrolled: 2-line block ×3, first 2 shown]
	v_fmamk_f32 v139, v36, 0xbf27a4f4, v101
	v_fmamk_f32 v140, v36, 0xbf75a155, v35
	v_add_f32_e32 v26, v26, v29
	v_add_f32_e32 v28, v28, v50
	v_fma_f32 v101, 0xbf27a4f4, v36, -v101
	v_fma_f32 v35, 0xbf75a155, v36, -v35
	;; [unrolled: 1-line block ×3, first 2 shown]
	v_fmamk_f32 v141, v43, 0x3ed4b147, v103
	v_fma_f32 v142, 0xbe11bafb, v46, -v104
	v_fmamk_f32 v143, v49, 0xbe11bafb, v105
	v_fma_f32 v144, 0xbf27a4f4, v53, -v106
	v_fmac_f32_e32 v102, 0x3ed4b147, v40
	v_fma_f32 v103, 0x3ed4b147, v43, -v103
	v_fmac_f32_e32 v104, 0xbe11bafb, v46
	;; [unrolled: 2-line block ×3, first 2 shown]
	v_fma_f32 v145, 0xbf27a4f4, v40, -v107
	v_fmamk_f32 v146, v43, 0xbf27a4f4, v108
	v_fma_f32 v147, 0xbf75a155, v46, -v109
	v_fmamk_f32 v148, v49, 0xbf75a155, v110
	v_fma_f32 v149, 0xbe11bafb, v53, -v111
	v_fmac_f32_e32 v107, 0xbf27a4f4, v40
	v_fma_f32 v108, 0xbf27a4f4, v43, -v108
	v_fmac_f32_e32 v109, 0xbf75a155, v46
	;; [unrolled: 2-line block ×3, first 2 shown]
	v_fma_f32 v150, 0xbf75a155, v40, -v112
	v_fmamk_f32 v151, v43, 0xbf75a155, v113
	v_fma_f32 v152, 0x3ed4b147, v46, -v114
	v_fmamk_f32 v153, v49, 0x3ed4b147, v115
	v_fmac_f32_e32 v112, 0xbf75a155, v40
	v_fma_f32 v113, 0xbf75a155, v43, -v113
	v_fmac_f32_e32 v114, 0x3ed4b147, v46
	v_fma_f32 v115, 0x3ed4b147, v49, -v115
	v_fma_f32 v154, 0xbe11bafb, v40, -v117
	v_fmamk_f32 v155, v43, 0xbe11bafb, v118
	v_fma_f32 v156, 0x3f575c64, v46, -v119
	v_fmamk_f32 v29, v49, 0x3f575c64, v120
	v_fmac_f32_e32 v117, 0xbe11bafb, v40
	v_fma_f32 v118, 0xbe11bafb, v43, -v118
	v_fmac_f32_e32 v119, 0x3f575c64, v46
	v_fma_f32 v120, 0x3f575c64, v49, -v120
	v_fma_f32 v50, 0x3f575c64, v40, -v38
	v_fmac_f32_e32 v38, 0x3f575c64, v40
	v_fmamk_f32 v40, v43, 0x3f575c64, v41
	v_fma_f32 v41, 0x3f575c64, v43, -v41
	v_fma_f32 v43, 0xbf27a4f4, v46, -v45
	v_fmac_f32_e32 v45, 0xbf27a4f4, v46
	v_fmamk_f32 v46, v49, 0xbf27a4f4, v47
	v_fma_f32 v47, 0xbf27a4f4, v49, -v47
	v_fma_f32 v49, 0x3f575c64, v53, -v116
	v_fmac_f32_e32 v116, 0x3f575c64, v53
	v_fma_f32 v157, 0xbf75a155, v53, -v121
	v_fmac_f32_e32 v121, 0xbf75a155, v53
	;; [unrolled: 2-line block ×3, first 2 shown]
	v_fmamk_f32 v53, v58, 0xbf27a4f4, v37
	v_fma_f32 v37, 0xbf27a4f4, v58, -v37
	v_fmamk_f32 v159, v58, 0xbe11bafb, v48
	v_fma_f32 v48, 0xbe11bafb, v58, -v48
	;; [unrolled: 2-line block ×5, first 2 shown]
	v_fma_f32 v58, 0xbf75a155, v62, -v124
	v_fmac_f32_e32 v124, 0xbf75a155, v62
	v_fma_f32 v163, 0x3f575c64, v62, -v125
	v_fmac_f32_e32 v125, 0x3f575c64, v62
	;; [unrolled: 2-line block ×5, first 2 shown]
	v_fmamk_f32 v62, v93, 0xbf75a155, v128
	v_fma_f32 v128, 0xbf75a155, v93, -v128
	v_fmamk_f32 v167, v93, 0x3f575c64, v129
	v_fma_f32 v129, 0x3f575c64, v93, -v129
	;; [unrolled: 2-line block ×5, first 2 shown]
	v_add_f32_e32 v93, v24, v132
	v_add_f32_e32 v34, v25, v34
	;; [unrolled: 1-line block ×112, first 2 shown]
	ds_write2_b64 v90, v[28:29], v[32:33] offset0:8 offset1:12
	v_add_f32_e32 v28, v45, v44
	v_add_f32_e32 v29, v46, v63
	ds_write2_b64 v90, v[36:37], v[40:41] offset0:16 offset1:20
	ds_write2_b64 v90, v[42:43], v[38:39] offset0:24 offset1:28
	ds_write2_b64 v90, v[34:35], v[30:31] offset0:32 offset1:36
	ds_write_b64 v90, v[26:27] offset:320
	ds_write2_b64 v90, v[28:29], v[24:25] offset1:4
	s_waitcnt lgkmcnt(0)
	s_barrier
	buffer_gl0_inv
	s_clause 0x4
	global_load_dwordx4 v[40:43], v[20:21], off offset:320
	global_load_dwordx4 v[36:39], v[20:21], off offset:336
	;; [unrolled: 1-line block ×5, first 2 shown]
	ds_read2_b64 v[91:94], v85 offset0:88 offset1:132
	ds_read2_b64 v[95:98], v85 offset0:176 offset1:220
	;; [unrolled: 1-line block ×4, first 2 shown]
	ds_read_b64 v[49:50], v85 offset:3520
	ds_read2_b64 v[44:47], v85 offset1:44
	s_waitcnt vmcnt(4) lgkmcnt(0)
	v_mul_f32_e32 v112, v46, v41
	s_waitcnt vmcnt(3)
	v_mul_f32_e32 v54, v94, v37
	v_mul_f32_e32 v113, v47, v41
	;; [unrolled: 1-line block ×3, first 2 shown]
	s_waitcnt vmcnt(0)
	v_mul_f32_e32 v21, v49, v31
	v_mul_f32_e32 v63, v91, v43
	;; [unrolled: 1-line block ×16, first 2 shown]
	v_fma_f32 v62, v93, v36, -v54
	v_fmac_f32_e32 v21, v50, v30
	v_fmac_f32_e32 v112, v47, v40
	v_fma_f32 v93, v46, v40, -v113
	v_fma_f32 v91, v91, v42, -v52
	v_fmac_f32_e32 v63, v92, v42
	v_fmac_f32_e32 v61, v94, v36
	v_fma_f32 v60, v95, v38, -v57
	v_fmac_f32_e32 v58, v96, v38
	v_fma_f32 v59, v97, v24, -v59
	;; [unrolled: 2-line block ×5, first 2 shown]
	v_fma_f32 v49, v49, v30, -v111
	v_fmac_f32_e32 v20, v104, v34
	v_fma_f32 v50, v105, v28, -v110
	v_fmac_f32_e32 v48, v106, v28
	v_sub_f32_e32 v47, v112, v21
	v_add_f32_e32 v94, v44, v93
	v_add_f32_e32 v95, v45, v112
	;; [unrolled: 1-line block ×3, first 2 shown]
	v_sub_f32_e32 v96, v93, v49
	v_add_f32_e32 v92, v112, v21
	v_sub_f32_e32 v98, v63, v48
	v_add_f32_e32 v93, v91, v50
	v_sub_f32_e32 v99, v61, v20
	v_sub_f32_e32 v100, v58, v51
	;; [unrolled: 1-line block ×4, first 2 shown]
	v_add_f32_e32 v105, v63, v48
	v_sub_f32_e32 v106, v62, v52
	v_sub_f32_e32 v108, v60, v54
	v_sub_f32_e32 v110, v59, v57
	v_mul_f32_e32 v112, 0xbf0a6770, v47
	v_mul_f32_e32 v113, 0xbf68dda4, v47
	;; [unrolled: 1-line block ×5, first 2 shown]
	v_add_f32_e32 v91, v94, v91
	v_add_f32_e32 v63, v95, v63
	;; [unrolled: 1-line block ×8, first 2 shown]
	v_mul_f32_e32 v116, 0xbf0a6770, v96
	v_mul_f32_e32 v117, 0xbf68dda4, v96
	;; [unrolled: 1-line block ×45, first 2 shown]
	v_fma_f32 v150, 0x3f575c64, v46, -v112
	v_fmac_f32_e32 v112, 0x3f575c64, v46
	v_fma_f32 v151, 0x3ed4b147, v46, -v113
	v_fmac_f32_e32 v113, 0x3ed4b147, v46
	;; [unrolled: 2-line block ×5, first 2 shown]
	v_add_f32_e32 v62, v91, v62
	v_add_f32_e32 v61, v63, v61
	v_fmamk_f32 v46, v92, 0x3f575c64, v116
	v_fma_f32 v116, 0x3f575c64, v92, -v116
	v_fmamk_f32 v155, v92, 0x3ed4b147, v117
	v_fma_f32 v117, 0x3ed4b147, v92, -v117
	;; [unrolled: 2-line block ×5, first 2 shown]
	v_fma_f32 v96, 0x3ed4b147, v93, -v120
	v_fma_f32 v159, 0xbe11bafb, v97, -v121
	;; [unrolled: 1-line block ×9, first 2 shown]
	v_fmac_f32_e32 v120, 0x3ed4b147, v93
	v_fmac_f32_e32 v123, 0xbf27a4f4, v93
	;; [unrolled: 1-line block ×5, first 2 shown]
	v_fma_f32 v93, 0xbf27a4f4, v97, -v99
	v_fmac_f32_e32 v121, 0xbe11bafb, v97
	v_fmac_f32_e32 v124, 0xbf75a155, v97
	;; [unrolled: 1-line block ×5, first 2 shown]
	v_fma_f32 v97, 0xbf27a4f4, v101, -v122
	v_fmac_f32_e32 v122, 0xbf27a4f4, v101
	v_fma_f32 v167, 0xbe11bafb, v101, -v125
	v_fmac_f32_e32 v125, 0xbe11bafb, v101
	v_fma_f32 v168, 0x3f575c64, v101, -v128
	v_fmac_f32_e32 v128, 0x3f575c64, v101
	v_fma_f32 v169, 0xbf75a155, v101, -v131
	v_fmac_f32_e32 v131, 0xbf75a155, v101
	v_fma_f32 v170, 0x3ed4b147, v101, -v100
	v_fmac_f32_e32 v100, 0x3ed4b147, v101
	v_fma_f32 v101, 0xbf75a155, v103, -v132
	v_fmac_f32_e32 v132, 0xbf75a155, v103
	v_fma_f32 v171, 0x3f575c64, v103, -v133
	v_fmac_f32_e32 v133, 0x3f575c64, v103
	v_fma_f32 v172, 0xbf27a4f4, v103, -v134
	v_fmac_f32_e32 v134, 0xbf27a4f4, v103
	v_fma_f32 v173, 0x3ed4b147, v103, -v135
	v_fmac_f32_e32 v135, 0x3ed4b147, v103
	v_fma_f32 v174, 0xbe11bafb, v103, -v102
	v_fmac_f32_e32 v102, 0xbe11bafb, v103
	v_fmamk_f32 v103, v105, 0xbf27a4f4, v94
	v_fma_f32 v94, 0xbf27a4f4, v105, -v94
	v_fmamk_f32 v175, v105, 0xbf75a155, v136
	v_fma_f32 v136, 0xbf75a155, v105, -v136
	;; [unrolled: 2-line block ×20, first 2 shown]
	v_add_f32_e32 v146, v44, v150
	v_add_f32_e32 v112, v44, v112
	;; [unrolled: 1-line block ×114, first 2 shown]
	ds_write2_b64 v85, v[91:92], v[53:54] offset1:44
	ds_write2_b64 v85, v[51:52], v[57:58] offset0:88 offset1:132
	ds_write2_b64 v85, v[59:60], v[61:62] offset0:176 offset1:220
	;; [unrolled: 1-line block ×4, first 2 shown]
	ds_write_b64 v85, v[20:21] offset:3520
	s_waitcnt lgkmcnt(0)
	s_barrier
	buffer_gl0_inv
	global_load_dwordx2 v[54:55], v[66:67], off offset:1824
	v_add_co_u32 v48, s0, 0xf20, v64
	v_add_co_ci_u32_e64 v49, s0, 0, v65, s0
	s_clause 0x1
	global_load_dwordx2 v[62:63], v[48:49], off offset:352
	global_load_dwordx2 v[99:100], v[48:49], off offset:968
	v_add_co_u32 v50, s0, 0x1800, v64
	v_add_co_ci_u32_e64 v51, s0, 0, v65, s0
	s_clause 0x4
	global_load_dwordx2 v[101:102], v[48:49], off offset:1320
	global_load_dwordx2 v[103:104], v[48:49], off offset:1936
	global_load_dwordx2 v[105:106], v[50:51], off offset:16
	global_load_dwordx2 v[107:108], v[50:51], off offset:632
	global_load_dwordx2 v[109:110], v[50:51], off offset:984
	ds_read2_b64 v[50:53], v85 offset1:44
	s_waitcnt vmcnt(7) lgkmcnt(0)
	v_mul_f32_e32 v57, v51, v55
	v_mul_f32_e32 v59, v50, v55
	v_fma_f32 v58, v50, v54, -v57
	v_fmac_f32_e32 v59, v51, v54
	v_add_nc_u32_e32 v57, 0x400, v85
	s_waitcnt vmcnt(6)
	v_mul_f32_e32 v50, v53, v63
	v_mul_f32_e32 v51, v52, v63
	ds_write_b64 v85, v[58:59]
	ds_read2_b64 v[58:61], v85 offset0:121 offset1:165
	ds_read2_b64 v[91:94], v57 offset0:114 offset1:158
	;; [unrolled: 1-line block ×3, first 2 shown]
	v_fma_f32 v50, v52, v62, -v50
	v_fmac_f32_e32 v51, v53, v62
	s_waitcnt vmcnt(5) lgkmcnt(2)
	v_mul_f32_e32 v52, v59, v100
	v_mul_f32_e32 v53, v58, v100
	s_waitcnt vmcnt(4)
	v_mul_f32_e32 v54, v61, v102
	v_mul_f32_e32 v55, v60, v102
	s_waitcnt vmcnt(3) lgkmcnt(1)
	v_mul_f32_e32 v63, v92, v104
	v_mul_f32_e32 v62, v91, v104
	s_waitcnt vmcnt(2)
	v_mul_f32_e32 v111, v94, v106
	v_mul_f32_e32 v100, v93, v106
	;; [unrolled: 6-line block ×3, first 2 shown]
	v_fma_f32 v52, v58, v99, -v52
	v_fmac_f32_e32 v53, v59, v99
	v_fma_f32 v54, v60, v101, -v54
	v_fmac_f32_e32 v55, v61, v101
	;; [unrolled: 2-line block ×6, first 2 shown]
	ds_write2_b64 v85, v[50:51], v[52:53] offset0:44 offset1:121
	ds_write2_b64 v85, v[54:55], v[61:62] offset0:165 offset1:242
	;; [unrolled: 1-line block ×3, first 2 shown]
	ds_write_b64 v85, v[103:104] offset:3256
	s_and_saveexec_b32 s1, vcc_lo
	s_cbranch_execz .LBB0_9
; %bb.8:
	s_clause 0x1
	global_load_dwordx2 v[58:59], v[48:49], off offset:704
	global_load_dwordx2 v[60:61], v[48:49], off offset:1672
	v_add_co_u32 v48, s0, 0x800, v48
	v_add_co_ci_u32_e64 v49, s0, 0, v49, s0
	s_clause 0x1
	global_load_dwordx2 v[62:63], v[48:49], off offset:592
	global_load_dwordx2 v[91:92], v[48:49], off offset:1560
	ds_read2_b64 v[48:51], v85 offset0:88 offset1:209
	ds_read2_b64 v[52:55], v56 offset0:74 offset1:195
	s_waitcnt vmcnt(3) lgkmcnt(1)
	v_mul_f32_e32 v93, v49, v59
	v_mul_f32_e32 v94, v48, v59
	s_waitcnt vmcnt(2)
	v_mul_f32_e32 v95, v51, v61
	v_mul_f32_e32 v59, v50, v61
	v_fma_f32 v93, v48, v58, -v93
	v_fmac_f32_e32 v94, v49, v58
	v_fma_f32 v58, v50, v60, -v95
	s_waitcnt vmcnt(1) lgkmcnt(0)
	v_mul_f32_e32 v48, v53, v63
	v_mul_f32_e32 v49, v52, v63
	s_waitcnt vmcnt(0)
	v_mul_f32_e32 v50, v55, v92
	v_mul_f32_e32 v61, v54, v92
	v_fmac_f32_e32 v59, v51, v60
	v_fma_f32 v48, v52, v62, -v48
	v_fmac_f32_e32 v49, v53, v62
	v_fma_f32 v60, v54, v91, -v50
	v_fmac_f32_e32 v61, v55, v91
	ds_write2_b64 v85, v[93:94], v[58:59] offset0:88 offset1:209
	ds_write2_b64 v56, v[48:49], v[60:61] offset0:74 offset1:195
.LBB0_9:
	s_or_b32 exec_lo, exec_lo, s1
	s_waitcnt lgkmcnt(0)
	s_barrier
	buffer_gl0_inv
	ds_read2_b64 v[48:51], v85 offset1:44
	ds_read2_b64 v[52:55], v85 offset0:121 offset1:165
	ds_read2_b64 v[60:63], v57 offset0:114 offset1:158
	;; [unrolled: 1-line block ×3, first 2 shown]
	v_add_nc_u32_e32 v89, 0x580, v89
	s_and_saveexec_b32 s0, vcc_lo
	s_cbranch_execz .LBB0_11
; %bb.10:
	v_add_nc_u32_e32 v20, 0x800, v85
	ds_read2_b64 v[44:47], v85 offset0:88 offset1:209
	ds_read2_b64 v[20:23], v20 offset0:74 offset1:195
.LBB0_11:
	s_or_b32 exec_lo, exec_lo, s0
	s_waitcnt lgkmcnt(1)
	v_sub_f32_e32 v61, v49, v61
	s_waitcnt lgkmcnt(0)
	v_sub_f32_e32 v57, v53, v57
	v_sub_f32_e32 v60, v48, v60
	;; [unrolled: 1-line block ×5, first 2 shown]
	v_fma_f32 v49, v49, 2.0, -v61
	v_fma_f32 v53, v53, 2.0, -v57
	v_sub_f32_e32 v92, v54, v58
	v_sub_f32_e32 v93, v55, v59
	v_fma_f32 v48, v48, 2.0, -v60
	v_fma_f32 v52, v52, 2.0, -v91
	v_add_f32_e32 v58, v60, v57
	v_sub_f32_e32 v57, v49, v53
	v_fma_f32 v94, v50, 2.0, -v62
	v_fma_f32 v95, v51, 2.0, -v63
	;; [unrolled: 1-line block ×4, first 2 shown]
	v_sub_f32_e32 v56, v48, v52
	v_sub_f32_e32 v59, v61, v91
	v_add_f32_e32 v54, v62, v93
	v_sub_f32_e32 v52, v94, v51
	v_sub_f32_e32 v53, v95, v53
	;; [unrolled: 1-line block ×3, first 2 shown]
	v_fma_f32 v48, v48, 2.0, -v56
	v_fma_f32 v49, v49, 2.0, -v57
	v_fma_f32 v50, v60, 2.0, -v58
	v_fma_f32 v51, v61, 2.0, -v59
	v_fma_f32 v60, v94, 2.0, -v52
	v_fma_f32 v61, v95, 2.0, -v53
	v_fma_f32 v62, v62, 2.0, -v54
	v_fma_f32 v63, v63, 2.0, -v55
	s_barrier
	buffer_gl0_inv
	ds_write_b128 v88, v[48:51]
	ds_write_b128 v88, v[56:59] offset:16
	ds_write_b128 v89, v[60:63]
	ds_write_b128 v89, v[52:55] offset:16
	s_and_saveexec_b32 s0, vcc_lo
	s_cbranch_execz .LBB0_13
; %bb.12:
	v_sub_f32_e32 v48, v45, v21
	v_sub_f32_e32 v21, v47, v23
	;; [unrolled: 1-line block ×4, first 2 shown]
	v_fma_f32 v45, v45, 2.0, -v48
	v_fma_f32 v47, v47, 2.0, -v21
	;; [unrolled: 1-line block ×4, first 2 shown]
	v_sub_f32_e32 v23, v48, v20
	v_add_f32_e32 v22, v21, v49
	v_sub_f32_e32 v21, v45, v47
	v_sub_f32_e32 v20, v44, v46
	v_fma_f32 v47, v48, 2.0, -v23
	v_fma_f32 v46, v49, 2.0, -v22
	;; [unrolled: 1-line block ×4, first 2 shown]
	ds_write_b128 v87, v[44:47]
	ds_write_b128 v87, v[20:23] offset:16
.LBB0_13:
	s_or_b32 exec_lo, exec_lo, s0
	s_waitcnt lgkmcnt(0)
	s_barrier
	buffer_gl0_inv
	ds_read2_b64 v[44:47], v85 offset1:44
	ds_read2_b64 v[48:51], v85 offset0:88 offset1:132
	ds_read2_b64 v[52:55], v85 offset0:176 offset1:220
	ds_read_b64 v[21:22], v85 offset:3520
	v_add_nc_u32_e32 v20, 0x800, v85
	ds_read2_b64 v[56:59], v20 offset0:8 offset1:52
	ds_read2_b64 v[60:63], v20 offset0:96 offset1:140
	s_waitcnt lgkmcnt(0)
	s_barrier
	buffer_gl0_inv
	s_mov_b32 s2, 0x6be69c90
	s_mov_b32 s3, 0x3f60ecf5
	s_mul_hi_u32 s1, s8, 0x79
	v_mul_f32_e32 v23, v13, v47
	v_mul_f32_e32 v13, v13, v46
	;; [unrolled: 1-line block ×8, first 2 shown]
	v_fmac_f32_e32 v23, v12, v46
	v_fma_f32 v12, v12, v47, -v13
	v_fmac_f32_e32 v87, v14, v48
	v_fma_f32 v13, v14, v49, -v15
	;; [unrolled: 2-line block ×4, first 2 shown]
	v_add_f32_e32 v10, v44, v23
	v_add_f32_e32 v11, v45, v12
	v_mul_f32_e32 v91, v5, v55
	v_mul_f32_e32 v5, v5, v54
	;; [unrolled: 1-line block ×3, first 2 shown]
	v_add_f32_e32 v10, v10, v87
	v_add_f32_e32 v11, v11, v13
	v_fmac_f32_e32 v91, v4, v54
	v_fma_f32 v4, v4, v55, -v5
	v_mul_f32_e32 v5, v7, v57
	v_add_f32_e32 v10, v10, v88
	v_add_f32_e32 v11, v11, v8
	v_mul_f32_e32 v7, v7, v56
	v_mul_f32_e32 v1, v1, v58
	v_fmac_f32_e32 v5, v6, v56
	v_add_f32_e32 v10, v10, v89
	v_add_f32_e32 v11, v11, v9
	v_fma_f32 v6, v6, v57, -v7
	v_mul_f32_e32 v15, v3, v61
	v_mul_f32_e32 v3, v3, v60
	v_add_f32_e32 v7, v10, v91
	v_add_f32_e32 v10, v11, v4
	v_fma_f32 v11, v0, v59, -v1
	v_mul_f32_e32 v92, v19, v22
	v_mul_f32_e32 v19, v19, v21
	;; [unrolled: 1-line block ×3, first 2 shown]
	v_add_f32_e32 v1, v10, v6
	v_mul_f32_e32 v17, v17, v62
	v_fmac_f32_e32 v15, v2, v60
	v_fma_f32 v2, v2, v61, -v3
	v_fmac_f32_e32 v14, v0, v58
	v_add_f32_e32 v1, v1, v11
	v_add_f32_e32 v0, v7, v5
	v_fma_f32 v7, v18, v22, -v19
	v_fma_f32 v3, v16, v63, -v17
	v_fmac_f32_e32 v92, v18, v21
	v_add_f32_e32 v1, v1, v2
	v_add_f32_e32 v0, v0, v14
	v_sub_f32_e32 v10, v12, v7
	v_add_f32_e32 v12, v12, v7
	v_fmac_f32_e32 v46, v16, v62
	v_add_f32_e32 v1, v1, v3
	v_add_f32_e32 v0, v0, v15
	;; [unrolled: 1-line block ×3, first 2 shown]
	v_mul_f32_e32 v17, 0xbf0a6770, v10
	v_sub_f32_e32 v18, v23, v92
	v_mul_f32_e32 v19, 0x3f575c64, v12
	v_add_f32_e32 v1, v1, v7
	v_mul_f32_e32 v7, 0xbf68dda4, v10
	v_mul_f32_e32 v47, 0x3ed4b147, v12
	;; [unrolled: 1-line block ×8, first 2 shown]
	v_sub_f32_e32 v58, v13, v3
	v_add_f32_e32 v3, v13, v3
	v_add_f32_e32 v0, v0, v46
	v_fmamk_f32 v21, v16, 0x3f575c64, v17
	v_fmamk_f32 v22, v18, 0x3f0a6770, v19
	v_fma_f32 v17, 0x3f575c64, v16, -v17
	v_fmac_f32_e32 v19, 0xbf0a6770, v18
	v_fmamk_f32 v23, v16, 0x3ed4b147, v7
	v_fmamk_f32 v49, v18, 0x3f68dda4, v47
	v_fma_f32 v7, 0x3ed4b147, v16, -v7
	v_fmac_f32_e32 v47, 0xbf68dda4, v18
	;; [unrolled: 4-line block ×4, first 2 shown]
	v_fmamk_f32 v57, v16, 0xbf75a155, v10
	v_fmamk_f32 v59, v18, 0x3e903f40, v12
	v_fma_f32 v10, 0xbf75a155, v16, -v10
	v_add_f32_e32 v13, v87, v46
	v_mul_f32_e32 v16, 0xbf68dda4, v58
	v_fmac_f32_e32 v12, 0xbe903f40, v18
	v_sub_f32_e32 v18, v87, v46
	v_mul_f32_e32 v46, 0x3ed4b147, v3
	v_add_f32_e32 v21, v44, v21
	v_add_f32_e32 v22, v45, v22
	;; [unrolled: 1-line block ×18, first 2 shown]
	v_fmamk_f32 v60, v13, 0x3ed4b147, v16
	v_add_f32_e32 v10, v44, v10
	v_add_f32_e32 v12, v45, v12
	v_fmamk_f32 v44, v18, 0x3f68dda4, v46
	v_mul_f32_e32 v45, 0xbf4178ce, v58
	v_add_f32_e32 v21, v60, v21
	v_fma_f32 v16, 0x3ed4b147, v13, -v16
	v_fmac_f32_e32 v46, 0xbf68dda4, v18
	v_add_f32_e32 v22, v44, v22
	v_fmamk_f32 v44, v13, 0xbf27a4f4, v45
	v_mul_f32_e32 v60, 0xbf27a4f4, v3
	v_add_f32_e32 v16, v16, v17
	v_add_f32_e32 v17, v46, v19
	v_mul_f32_e32 v19, 0x3e903f40, v58
	v_add_f32_e32 v23, v44, v23
	v_fmamk_f32 v44, v18, 0x3f4178ce, v60
	v_fma_f32 v45, 0xbf27a4f4, v13, -v45
	v_fmac_f32_e32 v60, 0xbf4178ce, v18
	v_mul_f32_e32 v61, 0xbf75a155, v3
	v_fmamk_f32 v46, v13, 0xbf75a155, v19
	v_add_f32_e32 v44, v44, v49
	v_add_f32_e32 v7, v45, v7
	;; [unrolled: 1-line block ×3, first 2 shown]
	v_fmamk_f32 v47, v18, 0xbe903f40, v61
	v_mul_f32_e32 v49, 0x3f7d64f0, v58
	v_add_f32_e32 v46, v46, v51
	v_fma_f32 v19, 0xbf75a155, v13, -v19
	v_mul_f32_e32 v51, 0xbe11bafb, v3
	v_add_f32_e32 v47, v47, v52
	v_fmamk_f32 v52, v13, 0xbe11bafb, v49
	v_mul_f32_e32 v58, 0x3f0a6770, v58
	v_fma_f32 v49, 0xbe11bafb, v13, -v49
	v_add_f32_e32 v19, v19, v48
	v_fmamk_f32 v48, v18, 0xbf7d64f0, v51
	v_add_f32_e32 v52, v52, v55
	v_fmac_f32_e32 v51, 0x3f7d64f0, v18
	v_fmamk_f32 v55, v13, 0x3f575c64, v58
	v_add_f32_e32 v49, v49, v53
	v_sub_f32_e32 v53, v8, v2
	v_add_f32_e32 v48, v48, v56
	v_mul_f32_e32 v3, 0x3f575c64, v3
	v_add_f32_e32 v51, v51, v54
	v_add_f32_e32 v54, v55, v57
	;; [unrolled: 1-line block ×3, first 2 shown]
	v_mul_f32_e32 v57, 0xbf7d64f0, v53
	v_add_f32_e32 v2, v8, v2
	v_fmac_f32_e32 v61, 0x3e903f40, v18
	v_fmamk_f32 v55, v18, 0xbf0a6770, v3
	v_fma_f32 v8, 0x3f575c64, v13, -v58
	v_fmac_f32_e32 v3, 0x3f0a6770, v18
	v_sub_f32_e32 v13, v88, v15
	v_fmamk_f32 v15, v56, 0xbe11bafb, v57
	v_mul_f32_e32 v18, 0xbe11bafb, v2
	v_add_f32_e32 v8, v8, v10
	v_add_f32_e32 v3, v3, v12
	v_mul_f32_e32 v58, 0x3f575c64, v2
	v_add_f32_e32 v10, v15, v21
	v_fmamk_f32 v12, v13, 0x3f7d64f0, v18
	v_mul_f32_e32 v15, 0x3e903f40, v53
	v_fma_f32 v21, 0xbe11bafb, v56, -v57
	v_fmac_f32_e32 v18, 0xbf7d64f0, v13
	v_mul_f32_e32 v57, 0xbf75a155, v2
	v_add_f32_e32 v12, v12, v22
	v_fmamk_f32 v22, v56, 0xbf75a155, v15
	v_add_f32_e32 v16, v21, v16
	v_add_f32_e32 v17, v18, v17
	v_fmamk_f32 v18, v13, 0xbe903f40, v57
	v_mul_f32_e32 v21, 0x3f68dda4, v53
	v_add_f32_e32 v22, v22, v23
	v_fma_f32 v15, 0xbf75a155, v56, -v15
	v_fmac_f32_e32 v57, 0x3e903f40, v13
	v_add_f32_e32 v18, v18, v44
	v_fmamk_f32 v23, v56, 0x3ed4b147, v21
	v_mul_f32_e32 v44, 0x3ed4b147, v2
	v_add_f32_e32 v7, v15, v7
	v_add_f32_e32 v15, v57, v45
	v_mul_f32_e32 v45, 0xbf0a6770, v53
	v_add_f32_e32 v23, v23, v46
	v_fmamk_f32 v46, v13, 0xbf68dda4, v44
	v_add_f32_e32 v50, v61, v50
	v_fma_f32 v21, 0x3ed4b147, v56, -v21
	v_fmac_f32_e32 v44, 0x3f68dda4, v13
	v_fmamk_f32 v57, v56, 0x3f575c64, v45
	v_add_f32_e32 v46, v46, v47
	v_fmamk_f32 v47, v13, 0x3f0a6770, v58
	v_fma_f32 v45, 0x3f575c64, v56, -v45
	v_fmac_f32_e32 v58, 0xbf0a6770, v13
	v_add_f32_e32 v19, v21, v19
	v_add_f32_e32 v21, v44, v50
	v_mul_f32_e32 v50, 0xbf4178ce, v53
	v_mul_f32_e32 v2, 0xbf27a4f4, v2
	v_add_f32_e32 v45, v45, v49
	v_add_f32_e32 v49, v58, v51
	v_sub_f32_e32 v51, v9, v11
	v_add_f32_e32 v9, v9, v11
	v_add_f32_e32 v44, v57, v52
	;; [unrolled: 1-line block ×3, first 2 shown]
	v_fmamk_f32 v48, v56, 0xbf27a4f4, v50
	v_fmamk_f32 v52, v13, 0x3f4178ce, v2
	v_add_f32_e32 v53, v89, v14
	v_mul_f32_e32 v11, 0xbf4178ce, v51
	v_fma_f32 v50, 0xbf27a4f4, v56, -v50
	v_fmac_f32_e32 v2, 0xbf4178ce, v13
	v_sub_f32_e32 v13, v89, v14
	v_mul_f32_e32 v14, 0xbf27a4f4, v9
	v_add_f32_e32 v48, v48, v54
	v_fmamk_f32 v54, v53, 0xbf27a4f4, v11
	v_add_f32_e32 v8, v50, v8
	v_add_f32_e32 v2, v2, v3
	v_mul_f32_e32 v3, 0x3f7d64f0, v51
	v_fmamk_f32 v50, v13, 0x3f4178ce, v14
	v_add_f32_e32 v10, v54, v10
	v_fma_f32 v11, 0xbf27a4f4, v53, -v11
	v_fmac_f32_e32 v14, 0xbf4178ce, v13
	v_fmamk_f32 v54, v53, 0xbe11bafb, v3
	v_add_f32_e32 v12, v50, v12
	v_mul_f32_e32 v50, 0xbe11bafb, v9
	v_add_f32_e32 v55, v55, v59
	v_add_f32_e32 v11, v11, v16
	v_add_f32_e32 v14, v14, v17
	v_add_f32_e32 v16, v54, v22
	v_mul_f32_e32 v17, 0xbf0a6770, v51
	v_fmamk_f32 v22, v13, 0xbf7d64f0, v50
	v_fma_f32 v3, 0xbe11bafb, v53, -v3
	v_mul_f32_e32 v54, 0x3f575c64, v9
	v_add_f32_e32 v52, v52, v55
	v_fmac_f32_e32 v50, 0x3f7d64f0, v13
	v_fmamk_f32 v55, v53, 0x3f575c64, v17
	v_add_f32_e32 v18, v22, v18
	v_add_f32_e32 v22, v3, v7
	v_fmamk_f32 v3, v13, 0x3f0a6770, v54
	v_mul_f32_e32 v7, 0xbe903f40, v51
	v_fma_f32 v17, 0x3f575c64, v53, -v17
	v_fmac_f32_e32 v54, 0xbf0a6770, v13
	v_add_f32_e32 v15, v50, v15
	v_add_f32_e32 v46, v3, v46
	v_fmamk_f32 v50, v53, 0xbf75a155, v7
	v_add_f32_e32 v17, v17, v19
	v_add_f32_e32 v19, v54, v21
	v_mul_f32_e32 v21, 0x3f68dda4, v51
	v_mul_f32_e32 v3, 0xbf75a155, v9
	v_add_f32_e32 v44, v50, v44
	v_fma_f32 v7, 0xbf75a155, v53, -v7
	v_mul_f32_e32 v9, 0x3ed4b147, v9
	v_fmamk_f32 v50, v53, 0x3ed4b147, v21
	v_fmamk_f32 v51, v13, 0x3e903f40, v3
	v_fmac_f32_e32 v3, 0xbe903f40, v13
	v_add_f32_e32 v45, v7, v45
	v_fma_f32 v7, 0x3ed4b147, v53, -v21
	v_add_f32_e32 v48, v50, v48
	v_sub_f32_e32 v50, v4, v6
	v_add_f32_e32 v47, v51, v47
	v_add_f32_e32 v49, v3, v49
	v_fmamk_f32 v3, v13, 0xbf68dda4, v9
	v_add_f32_e32 v21, v4, v6
	v_add_f32_e32 v51, v91, v5
	v_mul_f32_e32 v4, 0xbe903f40, v50
	v_fmac_f32_e32 v9, 0x3f68dda4, v13
	v_sub_f32_e32 v53, v91, v5
	v_mul_f32_e32 v5, 0xbf75a155, v21
	v_add_f32_e32 v52, v3, v52
	v_fmamk_f32 v3, v51, 0xbf75a155, v4
	v_fma_f32 v4, 0xbf75a155, v51, -v4
	v_add_f32_e32 v23, v55, v23
	v_add_f32_e32 v54, v7, v8
	;; [unrolled: 1-line block ×3, first 2 shown]
	v_fmamk_f32 v6, v53, 0x3e903f40, v5
	v_mul_f32_e32 v7, 0x3f0a6770, v50
	v_mul_f32_e32 v9, 0x3f575c64, v21
	v_add_f32_e32 v4, v4, v11
	v_mul_f32_e32 v11, 0xbf4178ce, v50
	v_add_f32_e32 v2, v3, v10
	v_add_f32_e32 v3, v6, v12
	v_fmamk_f32 v8, v53, 0xbf0a6770, v9
	v_fma_f32 v10, 0x3f575c64, v51, -v7
	v_fmamk_f32 v12, v51, 0xbf27a4f4, v11
	v_mul_f32_e32 v13, 0xbf27a4f4, v21
	v_fmac_f32_e32 v5, 0xbe903f40, v53
	v_fmamk_f32 v6, v51, 0x3f575c64, v7
	v_fmac_f32_e32 v9, 0x3f0a6770, v53
	v_add_f32_e32 v7, v8, v18
	v_add_f32_e32 v8, v10, v22
	;; [unrolled: 1-line block ×3, first 2 shown]
	v_fmamk_f32 v12, v53, 0x3f4178ce, v13
	v_fmac_f32_e32 v13, 0xbf4178ce, v53
	v_add_f32_e32 v5, v5, v14
	v_mul_f32_e32 v14, 0x3f68dda4, v50
	v_add_f32_e32 v9, v9, v15
	v_fma_f32 v15, 0xbf27a4f4, v51, -v11
	v_mul_f32_e32 v18, 0x3ed4b147, v21
	v_add_f32_e32 v13, v13, v19
	v_mul_f32_e32 v19, 0xbf7d64f0, v50
	v_mul_f32_e32 v22, 0xbe11bafb, v21
	v_add_f32_e32 v6, v6, v16
	v_fmamk_f32 v16, v51, 0x3ed4b147, v14
	v_add_f32_e32 v11, v12, v46
	v_add_f32_e32 v12, v15, v17
	v_fmamk_f32 v15, v53, 0xbf68dda4, v18
	v_fma_f32 v17, 0x3ed4b147, v51, -v14
	v_fmac_f32_e32 v18, 0x3f68dda4, v53
	v_fmamk_f32 v21, v51, 0xbe11bafb, v19
	v_fmamk_f32 v23, v53, 0x3f7d64f0, v22
	v_add_f32_e32 v14, v16, v44
	v_fma_f32 v44, 0xbe11bafb, v51, -v19
	v_fmac_f32_e32 v22, 0xbf7d64f0, v53
	v_add_f32_e32 v0, v0, v92
	v_add_f32_e32 v15, v15, v47
	v_add_f32_e32 v16, v17, v45
	v_add_f32_e32 v17, v18, v49
	v_add_f32_e32 v18, v21, v48
	v_add_f32_e32 v19, v23, v52
	v_add_f32_e32 v21, v44, v54
	v_add_f32_e32 v22, v22, v55
	ds_write2_b64 v90, v[0:1], v[2:3] offset1:4
	ds_write2_b64 v90, v[6:7], v[10:11] offset0:8 offset1:12
	ds_write2_b64 v90, v[14:15], v[18:19] offset0:16 offset1:20
	;; [unrolled: 1-line block ×4, first 2 shown]
	ds_write_b64 v90, v[4:5] offset:320
	s_waitcnt lgkmcnt(0)
	s_barrier
	buffer_gl0_inv
	ds_read2_b64 v[0:3], v85 offset1:44
	ds_read2_b64 v[4:7], v85 offset0:88 offset1:132
	ds_read2_b64 v[8:11], v85 offset0:176 offset1:220
	;; [unrolled: 1-line block ×4, first 2 shown]
	ds_read_b64 v[21:22], v85 offset:3520
	s_waitcnt lgkmcnt(5)
	v_mul_f32_e32 v23, v41, v3
	s_waitcnt lgkmcnt(4)
	v_mul_f32_e32 v44, v43, v5
	v_mul_f32_e32 v41, v41, v2
	;; [unrolled: 1-line block ×3, first 2 shown]
	v_fmac_f32_e32 v23, v40, v2
	v_fmac_f32_e32 v44, v42, v4
	v_mul_f32_e32 v4, v37, v7
	v_fma_f32 v2, v40, v3, -v41
	v_mul_f32_e32 v3, v37, v6
	s_waitcnt lgkmcnt(3)
	v_mul_f32_e32 v37, v39, v9
	v_mul_f32_e32 v39, v39, v8
	v_fmac_f32_e32 v4, v36, v6
	v_mul_f32_e32 v6, v25, v11
	v_fma_f32 v7, v36, v7, -v3
	v_mul_f32_e32 v3, v25, v10
	v_fma_f32 v5, v42, v5, -v43
	v_fmac_f32_e32 v37, v38, v8
	v_fmac_f32_e32 v6, v24, v10
	v_add_f32_e32 v10, v0, v23
	v_fma_f32 v8, v38, v9, -v39
	s_waitcnt lgkmcnt(2)
	v_mul_f32_e32 v9, v27, v13
	v_add_f32_e32 v25, v1, v2
	v_fma_f32 v11, v24, v11, -v3
	v_mul_f32_e32 v3, v27, v12
	v_add_f32_e32 v10, v10, v44
	v_fmac_f32_e32 v9, v26, v12
	v_add_f32_e32 v12, v25, v5
	v_mul_f32_e32 v24, v33, v15
	v_fma_f32 v13, v26, v13, -v3
	v_mul_f32_e32 v3, v33, v14
	v_add_f32_e32 v10, v10, v4
	v_add_f32_e32 v12, v12, v7
	v_fmac_f32_e32 v24, v32, v14
	s_waitcnt lgkmcnt(1)
	v_mul_f32_e32 v14, v35, v17
	v_fma_f32 v15, v32, v15, -v3
	v_add_f32_e32 v3, v10, v37
	v_add_f32_e32 v10, v12, v8
	v_mul_f32_e32 v12, v35, v16
	v_fmac_f32_e32 v14, v34, v16
	v_mul_f32_e32 v16, v29, v19
	v_add_f32_e32 v3, v3, v6
	v_add_f32_e32 v10, v10, v11
	v_fma_f32 v12, v34, v17, -v12
	s_waitcnt lgkmcnt(0)
	v_mul_f32_e32 v17, v31, v21
	v_mul_f32_e32 v25, v31, v22
	v_add_f32_e32 v3, v3, v9
	v_add_f32_e32 v10, v10, v13
	v_fmac_f32_e32 v16, v28, v18
	v_fma_f32 v17, v30, v22, -v17
	v_mul_f32_e32 v18, v29, v18
	v_add_f32_e32 v3, v3, v24
	v_add_f32_e32 v10, v10, v15
	v_fmac_f32_e32 v25, v30, v21
	v_sub_f32_e32 v21, v2, v17
	v_fma_f32 v18, v28, v19, -v18
	v_add_f32_e32 v3, v3, v14
	v_add_f32_e32 v10, v10, v12
	;; [unrolled: 1-line block ×3, first 2 shown]
	v_mul_f32_e32 v22, 0xbf0a6770, v21
	v_add_f32_e32 v26, v2, v17
	v_add_f32_e32 v2, v3, v16
	;; [unrolled: 1-line block ×3, first 2 shown]
	v_sub_f32_e32 v10, v23, v25
	v_fmamk_f32 v23, v19, 0x3f575c64, v22
	v_mul_f32_e32 v27, 0x3f575c64, v26
	v_add_f32_e32 v2, v2, v25
	v_mul_f32_e32 v25, 0xbf68dda4, v21
	v_mul_f32_e32 v28, 0x3ed4b147, v26
	;; [unrolled: 1-line block ×8, first 2 shown]
	v_sub_f32_e32 v42, v5, v18
	v_add_f32_e32 v5, v5, v18
	v_add_f32_e32 v3, v3, v17
	;; [unrolled: 1-line block ×3, first 2 shown]
	v_fmamk_f32 v23, v10, 0x3f0a6770, v27
	v_fma_f32 v22, 0x3f575c64, v19, -v22
	v_fmac_f32_e32 v27, 0xbf0a6770, v10
	v_fmamk_f32 v29, v19, 0x3ed4b147, v25
	v_fmamk_f32 v30, v10, 0x3f68dda4, v28
	v_fma_f32 v25, 0x3ed4b147, v19, -v25
	v_fmac_f32_e32 v28, 0xbf68dda4, v10
	v_fmamk_f32 v32, v19, 0xbe11bafb, v31
	;; [unrolled: 4-line block ×4, first 2 shown]
	v_fmamk_f32 v41, v10, 0x3e903f40, v26
	v_add_f32_e32 v43, v44, v16
	v_mul_f32_e32 v18, 0xbf68dda4, v42
	v_fma_f32 v19, 0xbf75a155, v19, -v21
	v_fmac_f32_e32 v26, 0xbe903f40, v10
	v_sub_f32_e32 v10, v44, v16
	v_mul_f32_e32 v16, 0x3ed4b147, v5
	v_add_f32_e32 v23, v1, v23
	v_add_f32_e32 v22, v0, v22
	v_add_f32_e32 v27, v1, v27
	v_add_f32_e32 v29, v0, v29
	v_add_f32_e32 v30, v1, v30
	v_add_f32_e32 v25, v0, v25
	v_add_f32_e32 v28, v1, v28
	v_add_f32_e32 v32, v0, v32
	v_add_f32_e32 v35, v1, v35
	v_add_f32_e32 v31, v0, v31
	v_add_f32_e32 v33, v1, v33
	v_add_f32_e32 v36, v0, v36
	v_add_f32_e32 v39, v1, v39
	v_add_f32_e32 v34, v0, v34
	v_add_f32_e32 v38, v1, v38
	v_add_f32_e32 v40, v0, v40
	v_add_f32_e32 v41, v1, v41
	v_fmamk_f32 v21, v43, 0x3ed4b147, v18
	v_add_f32_e32 v0, v0, v19
	v_add_f32_e32 v1, v1, v26
	v_mul_f32_e32 v19, 0xbf4178ce, v42
	v_fmamk_f32 v26, v10, 0x3f68dda4, v16
	v_add_f32_e32 v17, v21, v17
	v_fma_f32 v18, 0x3ed4b147, v43, -v18
	v_fmac_f32_e32 v16, 0xbf68dda4, v10
	v_fmamk_f32 v21, v43, 0xbf27a4f4, v19
	v_add_f32_e32 v23, v26, v23
	v_mul_f32_e32 v26, 0xbf27a4f4, v5
	v_add_f32_e32 v18, v18, v22
	v_add_f32_e32 v16, v16, v27
	v_add_f32_e32 v21, v21, v29
	v_mul_f32_e32 v22, 0x3e903f40, v42
	v_fmamk_f32 v27, v10, 0x3f4178ce, v26
	v_fma_f32 v19, 0xbf27a4f4, v43, -v19
	v_fmac_f32_e32 v26, 0xbf4178ce, v10
	v_mul_f32_e32 v29, 0xbf75a155, v5
	v_fmamk_f32 v44, v43, 0xbf75a155, v22
	v_add_f32_e32 v27, v27, v30
	v_add_f32_e32 v19, v19, v25
	;; [unrolled: 1-line block ×3, first 2 shown]
	v_fmamk_f32 v26, v10, 0xbe903f40, v29
	v_mul_f32_e32 v30, 0x3f7d64f0, v42
	v_fma_f32 v22, 0xbf75a155, v43, -v22
	v_add_f32_e32 v28, v44, v32
	v_fmac_f32_e32 v29, 0x3e903f40, v10
	v_add_f32_e32 v26, v26, v35
	v_fmamk_f32 v35, v43, 0xbe11bafb, v30
	v_add_f32_e32 v22, v22, v31
	v_mul_f32_e32 v31, 0x3f0a6770, v42
	v_mul_f32_e32 v32, 0xbe11bafb, v5
	v_fma_f32 v30, 0xbe11bafb, v43, -v30
	v_add_f32_e32 v35, v35, v36
	v_add_f32_e32 v29, v29, v33
	v_fmamk_f32 v36, v43, 0x3f575c64, v31
	v_fmamk_f32 v33, v10, 0xbf7d64f0, v32
	v_fmac_f32_e32 v32, 0x3f7d64f0, v10
	v_mul_f32_e32 v5, 0x3f575c64, v5
	v_add_f32_e32 v30, v30, v34
	v_add_f32_e32 v34, v36, v40
	v_sub_f32_e32 v36, v7, v12
	v_add_f32_e32 v7, v7, v12
	v_add_f32_e32 v33, v33, v39
	;; [unrolled: 1-line block ×3, first 2 shown]
	v_fmamk_f32 v38, v10, 0xbf0a6770, v5
	v_fma_f32 v31, 0x3f575c64, v43, -v31
	v_add_f32_e32 v12, v4, v14
	v_mul_f32_e32 v39, 0xbf7d64f0, v36
	v_fmac_f32_e32 v5, 0x3f0a6770, v10
	v_sub_f32_e32 v4, v4, v14
	v_mul_f32_e32 v10, 0xbe11bafb, v7
	v_add_f32_e32 v14, v38, v41
	v_fmamk_f32 v38, v12, 0xbe11bafb, v39
	v_add_f32_e32 v0, v31, v0
	v_add_f32_e32 v1, v5, v1
	v_fmamk_f32 v5, v4, 0x3f7d64f0, v10
	v_mul_f32_e32 v31, 0x3e903f40, v36
	v_fmac_f32_e32 v10, 0xbf7d64f0, v4
	v_add_f32_e32 v17, v38, v17
	v_fma_f32 v38, 0xbe11bafb, v12, -v39
	v_add_f32_e32 v5, v5, v23
	v_fmamk_f32 v23, v12, 0xbf75a155, v31
	v_mul_f32_e32 v39, 0xbf75a155, v7
	v_add_f32_e32 v10, v10, v16
	v_mul_f32_e32 v16, 0x3f68dda4, v36
	v_add_f32_e32 v18, v38, v18
	v_add_f32_e32 v21, v23, v21
	v_fmamk_f32 v23, v4, 0xbe903f40, v39
	v_fma_f32 v31, 0xbf75a155, v12, -v31
	v_fmamk_f32 v38, v12, 0x3ed4b147, v16
	v_mul_f32_e32 v40, 0x3ed4b147, v7
	v_fma_f32 v16, 0x3ed4b147, v12, -v16
	v_add_f32_e32 v23, v23, v27
	v_add_f32_e32 v19, v31, v19
	;; [unrolled: 1-line block ×3, first 2 shown]
	v_fmamk_f32 v28, v4, 0xbf68dda4, v40
	v_mul_f32_e32 v31, 0xbf0a6770, v36
	v_fmac_f32_e32 v40, 0x3f68dda4, v4
	v_mul_f32_e32 v38, 0x3f575c64, v7
	v_add_f32_e32 v16, v16, v22
	v_add_f32_e32 v26, v28, v26
	v_fmamk_f32 v28, v12, 0x3f575c64, v31
	v_add_f32_e32 v22, v40, v29
	v_fmamk_f32 v29, v4, 0x3f0a6770, v38
	v_mul_f32_e32 v36, 0xbf4178ce, v36
	v_fma_f32 v31, 0x3f575c64, v12, -v31
	v_fmac_f32_e32 v38, 0xbf0a6770, v4
	v_mul_f32_e32 v7, 0xbf27a4f4, v7
	v_add_f32_e32 v29, v29, v33
	v_fmamk_f32 v33, v12, 0xbf27a4f4, v36
	v_add_f32_e32 v30, v31, v30
	v_add_f32_e32 v31, v38, v32
	v_sub_f32_e32 v32, v8, v15
	v_add_f32_e32 v8, v8, v15
	v_fmac_f32_e32 v39, 0x3e903f40, v4
	v_add_f32_e32 v28, v28, v35
	v_add_f32_e32 v33, v33, v34
	v_fmamk_f32 v34, v4, 0x3f4178ce, v7
	v_add_f32_e32 v35, v37, v24
	v_mul_f32_e32 v15, 0xbf4178ce, v32
	v_fmac_f32_e32 v7, 0xbf4178ce, v4
	v_sub_f32_e32 v4, v37, v24
	v_mul_f32_e32 v24, 0xbf27a4f4, v8
	v_fma_f32 v12, 0xbf27a4f4, v12, -v36
	v_fmamk_f32 v36, v35, 0xbf27a4f4, v15
	v_add_f32_e32 v1, v7, v1
	v_fma_f32 v15, 0xbf27a4f4, v35, -v15
	v_fmamk_f32 v7, v4, 0x3f4178ce, v24
	v_add_f32_e32 v0, v12, v0
	v_add_f32_e32 v12, v36, v17
	v_mul_f32_e32 v17, 0x3f7d64f0, v32
	v_fmac_f32_e32 v24, 0xbf4178ce, v4
	v_add_f32_e32 v5, v7, v5
	v_mul_f32_e32 v7, 0xbe11bafb, v8
	v_add_f32_e32 v14, v34, v14
	v_fmamk_f32 v34, v35, 0xbe11bafb, v17
	v_add_f32_e32 v15, v15, v18
	v_add_f32_e32 v10, v24, v10
	v_mul_f32_e32 v18, 0xbf0a6770, v32
	v_fmamk_f32 v24, v4, 0xbf7d64f0, v7
	v_add_f32_e32 v25, v39, v25
	v_add_f32_e32 v21, v34, v21
	v_fma_f32 v17, 0xbe11bafb, v35, -v17
	v_fmac_f32_e32 v7, 0x3f7d64f0, v4
	v_fmamk_f32 v34, v35, 0x3f575c64, v18
	v_add_f32_e32 v23, v24, v23
	v_mul_f32_e32 v24, 0x3f575c64, v8
	v_add_f32_e32 v17, v17, v19
	v_add_f32_e32 v19, v7, v25
	;; [unrolled: 1-line block ×3, first 2 shown]
	v_mul_f32_e32 v7, 0xbe903f40, v32
	v_fmamk_f32 v27, v4, 0x3f0a6770, v24
	v_fma_f32 v18, 0x3f575c64, v35, -v18
	v_fmac_f32_e32 v24, 0xbf0a6770, v4
	v_mul_f32_e32 v34, 0xbf75a155, v8
	v_fmamk_f32 v36, v35, 0xbf75a155, v7
	v_add_f32_e32 v26, v27, v26
	v_mul_f32_e32 v27, 0x3f68dda4, v32
	v_add_f32_e32 v16, v18, v16
	v_add_f32_e32 v24, v24, v22
	v_fmamk_f32 v18, v4, 0x3e903f40, v34
	v_add_f32_e32 v22, v36, v28
	v_mul_f32_e32 v8, 0x3ed4b147, v8
	v_fma_f32 v7, 0xbf75a155, v35, -v7
	v_fmamk_f32 v28, v35, 0x3ed4b147, v27
	v_sub_f32_e32 v32, v11, v13
	v_add_f32_e32 v18, v18, v29
	v_fmamk_f32 v29, v4, 0xbf68dda4, v8
	v_add_f32_e32 v30, v7, v30
	v_add_f32_e32 v28, v28, v33
	v_add_f32_e32 v33, v6, v9
	v_mul_f32_e32 v7, 0xbe903f40, v32
	v_add_f32_e32 v13, v11, v13
	v_fmac_f32_e32 v8, 0x3f68dda4, v4
	v_fmac_f32_e32 v34, 0xbe903f40, v4
	v_fma_f32 v11, 0x3ed4b147, v35, -v27
	v_sub_f32_e32 v27, v6, v9
	v_fmamk_f32 v4, v33, 0xbf75a155, v7
	v_mul_f32_e32 v6, 0xbf75a155, v13
	v_add_f32_e32 v35, v8, v1
	v_mul_f32_e32 v8, 0x3f0a6770, v32
	v_add_f32_e32 v31, v34, v31
	v_add_f32_e32 v34, v11, v0
	v_add_f32_e32 v0, v4, v12
	v_fmamk_f32 v1, v27, 0x3e903f40, v6
	v_fma_f32 v4, 0xbf75a155, v33, -v7
	v_fmac_f32_e32 v6, 0xbe903f40, v27
	v_fmamk_f32 v7, v33, 0x3f575c64, v8
	v_mul_f32_e32 v9, 0x3f575c64, v13
	v_add_f32_e32 v29, v29, v14
	v_add_f32_e32 v1, v1, v5
	v_add_f32_e32 v5, v6, v10
	v_add_f32_e32 v6, v7, v21
	v_fmamk_f32 v7, v27, 0xbf0a6770, v9
	v_fma_f32 v8, 0x3f575c64, v33, -v8
	v_mul_f32_e32 v10, 0xbf4178ce, v32
	v_fmac_f32_e32 v9, 0x3f0a6770, v27
	v_mul_f32_e32 v36, 0xbf27a4f4, v13
	v_mul_f32_e32 v14, 0x3f68dda4, v32
	v_add_f32_e32 v4, v4, v15
	v_add_f32_e32 v8, v8, v17
	v_fmamk_f32 v11, v33, 0xbf27a4f4, v10
	v_add_f32_e32 v9, v9, v19
	v_fmamk_f32 v12, v27, 0x3f4178ce, v36
	v_fma_f32 v15, 0xbf27a4f4, v33, -v10
	v_mul_f32_e32 v17, 0x3ed4b147, v13
	v_fmamk_f32 v19, v33, 0x3ed4b147, v14
	v_add_f32_e32 v10, v11, v25
	v_add_f32_e32 v11, v12, v26
	;; [unrolled: 1-line block ×3, first 2 shown]
	v_fmamk_f32 v15, v27, 0xbf68dda4, v17
	v_fma_f32 v16, 0x3ed4b147, v33, -v14
	v_add_f32_e32 v14, v19, v22
	v_mul_f32_e32 v19, 0xbf7d64f0, v32
	v_mul_f32_e32 v13, 0xbe11bafb, v13
	v_add_f32_e32 v15, v15, v18
	v_fmac_f32_e32 v17, 0x3f68dda4, v27
	v_fmac_f32_e32 v36, 0xbf4178ce, v27
	v_fmamk_f32 v18, v33, 0xbe11bafb, v19
	v_fmamk_f32 v21, v27, 0x3f7d64f0, v13
	v_fma_f32 v22, 0xbe11bafb, v33, -v19
	v_fmac_f32_e32 v13, 0xbf7d64f0, v27
	v_add_f32_e32 v7, v7, v23
	v_add_f32_e32 v18, v18, v28
	;; [unrolled: 1-line block ×8, first 2 shown]
	ds_write2_b64 v85, v[2:3], v[0:1] offset1:44
	ds_write2_b64 v85, v[6:7], v[10:11] offset0:88 offset1:132
	ds_write2_b64 v85, v[14:15], v[18:19] offset0:176 offset1:220
	ds_write2_b64 v20, v[21:22], v[16:17] offset0:8 offset1:52
	ds_write2_b64 v20, v[12:13], v[8:9] offset0:96 offset1:140
	ds_write_b64 v85, v[4:5] offset:3520
	s_waitcnt lgkmcnt(0)
	s_barrier
	buffer_gl0_inv
	ds_read2_b64 v[0:3], v85 offset1:44
	v_add_nc_u32_e32 v8, 0x400, v85
	v_mad_u64_u32 v[16:17], null, s10, v70, 0
	v_mad_u64_u32 v[18:19], null, s8, v86, 0
	ds_read2_b64 v[8:11], v8 offset0:114 offset1:158
	v_mov_b32_e32 v14, v17
	v_mad_u64_u32 v[14:15], null, s11, v70, v[14:15]
	s_waitcnt lgkmcnt(1)
	v_mul_f32_e32 v5, v82, v0
	v_mul_f32_e32 v4, v82, v1
	v_fma_f32 v5, v81, v1, -v5
	v_fmac_f32_e32 v4, v81, v0
	s_waitcnt lgkmcnt(0)
	v_mul_f32_e32 v17, v80, v8
	v_mul_f32_e32 v30, v78, v10
	;; [unrolled: 1-line block ×3, first 2 shown]
	v_cvt_f64_f32_e32 v[12:13], v5
	v_cvt_f64_f32_e32 v[0:1], v4
	ds_read2_b64 v[4:7], v85 offset0:121 offset1:165
	v_fma_f32 v30, v77, v11, -v30
	v_fmac_f32_e32 v29, v77, v10
	v_cvt_f64_f32_e32 v[10:11], v29
	v_mul_f64 v[21:22], v[12:13], s[2:3]
	s_waitcnt lgkmcnt(0)
	v_mul_f32_e32 v13, v84, v4
	v_mul_f32_e32 v15, v84, v5
	v_mov_b32_e32 v12, v19
	v_mul_f32_e32 v19, v80, v9
	v_mul_f64 v[0:1], v[0:1], s[2:3]
	v_fma_f32 v13, v83, v5, -v13
	v_fmac_f32_e32 v15, v83, v4
	v_fmac_f32_e32 v19, v79, v8
	v_mul_f64 v[10:11], v[10:11], s[2:3]
	v_mad_u64_u32 v[4:5], null, s9, v86, v[12:13]
	v_cvt_f64_f32_e32 v[23:24], v13
	v_fma_f32 v5, v79, v9, -v17
	v_cvt_f64_f32_e32 v[8:9], v15
	v_mov_b32_e32 v17, v14
	ds_read2_b64 v[12:15], v20 offset0:107 offset1:151
	v_cvt_f64_f32_e32 v[25:26], v19
	v_cvt_f64_f32_e32 v[27:28], v5
	v_mov_b32_e32 v19, v4
	v_lshlrev_b64 v[4:5], 3, v[16:17]
	v_lshlrev_b64 v[16:17], 3, v[18:19]
	v_add_co_u32 v4, s0, s6, v4
	v_add_co_ci_u32_e64 v5, s0, s7, v5, s0
	v_cvt_f32_f64_e32 v0, v[0:1]
	v_add_co_u32 v4, s0, v4, v16
	v_add_co_ci_u32_e64 v5, s0, v5, v17, s0
	v_mul_f64 v[16:17], v[23:24], s[2:3]
	s_waitcnt lgkmcnt(0)
	v_mul_f32_e32 v23, v74, v13
	v_mul_f32_e32 v24, v74, v12
	v_cvt_f32_f64_e32 v1, v[21:22]
	v_mul_f64 v[18:19], v[25:26], s[2:3]
	v_mul_f32_e32 v25, v72, v3
	v_mul_f32_e32 v26, v72, v2
	v_fmac_f32_e32 v23, v73, v12
	v_fma_f32 v12, v73, v13, -v24
	v_mul_f64 v[21:22], v[27:28], s[2:3]
	v_mul_f32_e32 v27, v69, v7
	v_fmac_f32_e32 v25, v71, v2
	v_fma_f32 v26, v71, v3, -v26
	v_cvt_f64_f32_e32 v[2:3], v23
	v_cvt_f64_f32_e32 v[12:13], v12
	v_fmac_f32_e32 v27, v68, v6
	v_mul_f32_e32 v6, v69, v6
	v_mul_f32_e32 v31, v76, v15
	;; [unrolled: 1-line block ×3, first 2 shown]
	v_cvt_f64_f32_e32 v[23:24], v25
	v_cvt_f64_f32_e32 v[25:26], v26
	v_fma_f32 v6, v68, v7, -v6
	v_fmac_f32_e32 v31, v75, v14
	v_fma_f32 v32, v75, v15, -v32
	v_cvt_f64_f32_e32 v[14:15], v30
	v_mul_f64 v[8:9], v[8:9], s[2:3]
	v_cvt_f64_f32_e32 v[6:7], v6
	v_cvt_f64_f32_e32 v[27:28], v27
	;; [unrolled: 1-line block ×4, first 2 shown]
	s_mul_i32 s0, s9, 0x79
	v_cvt_f32_f64_e32 v18, v[18:19]
	s_add_i32 s1, s1, s0
	s_mul_i32 s0, s8, 0x79
	v_cvt_f32_f64_e32 v19, v[21:22]
	v_mul_f64 v[2:3], v[2:3], s[2:3]
	v_mul_f64 v[12:13], v[12:13], s[2:3]
	s_lshl_b64 s[4:5], s[0:1], 3
	s_mul_i32 s1, s9, 0xfffffec1
	global_store_dwordx2 v[4:5], v[0:1], off
	v_mul_f64 v[23:24], v[23:24], s[2:3]
	v_mul_f64 v[21:22], v[25:26], s[2:3]
	;; [unrolled: 1-line block ×3, first 2 shown]
	v_cvt_f32_f64_e32 v8, v[8:9]
	v_mul_f64 v[6:7], v[6:7], s[2:3]
	v_cvt_f32_f64_e32 v9, v[16:17]
	v_add_co_u32 v16, s0, v4, s4
	v_mul_f64 v[25:26], v[27:28], s[2:3]
	v_add_co_ci_u32_e64 v17, s0, s5, v5, s0
	v_mul_f64 v[27:28], v[29:30], s[2:3]
	v_mul_f64 v[29:30], v[31:32], s[2:3]
	v_add_co_u32 v31, s0, v16, s4
	v_add_co_ci_u32_e64 v32, s0, s5, v17, s0
	v_cvt_f32_f64_e32 v2, v[2:3]
	v_cvt_f32_f64_e32 v3, v[12:13]
	v_add_co_u32 v12, s0, v31, s4
	v_add_co_ci_u32_e64 v13, s0, s5, v32, s0
	s_mul_hi_u32 s0, s8, 0xfffffec1
	v_cvt_f32_f64_e32 v23, v[23:24]
	s_sub_i32 s0, s0, s8
	v_cvt_f32_f64_e32 v24, v[21:22]
	s_add_i32 s1, s0, s1
	s_mul_i32 s0, s8, 0xfffffec1
	v_cvt_f32_f64_e32 v22, v[6:7]
	s_lshl_b64 s[6:7], s[0:1], 3
	v_cvt_f32_f64_e32 v7, v[14:15]
	v_add_co_u32 v14, s0, v12, s6
	v_cvt_f32_f64_e32 v21, v[25:26]
	v_add_co_ci_u32_e64 v15, s0, s7, v13, s0
	v_cvt_f32_f64_e32 v6, v[10:11]
	v_cvt_f32_f64_e32 v10, v[27:28]
	;; [unrolled: 1-line block ×3, first 2 shown]
	v_add_co_u32 v4, s0, v14, s4
	v_add_co_ci_u32_e64 v5, s0, s5, v15, s0
	global_store_dwordx2 v[16:17], v[8:9], off
	v_add_co_u32 v8, s0, v4, s4
	v_add_co_ci_u32_e64 v9, s0, s5, v5, s0
	global_store_dwordx2 v[31:32], v[18:19], off
	;; [unrolled: 3-line block ×3, first 2 shown]
	global_store_dwordx2 v[14:15], v[23:24], off
	global_store_dwordx2 v[4:5], v[21:22], off
	;; [unrolled: 1-line block ×4, first 2 shown]
	s_and_b32 exec_lo, exec_lo, vcc_lo
	s_cbranch_execz .LBB0_15
; %bb.14:
	s_clause 0x3
	global_load_dwordx2 v[10:11], v[64:65], off offset:704
	global_load_dwordx2 v[12:13], v[64:65], off offset:1672
	;; [unrolled: 1-line block ×4, first 2 shown]
	ds_read2_b64 v[2:5], v85 offset0:88 offset1:209
	ds_read2_b64 v[6:9], v20 offset0:74 offset1:195
	v_add_co_u32 v0, vcc_lo, v0, s6
	v_add_co_ci_u32_e32 v1, vcc_lo, s7, v1, vcc_lo
	s_waitcnt vmcnt(3) lgkmcnt(1)
	v_mul_f32_e32 v18, v3, v11
	v_mul_f32_e32 v11, v2, v11
	s_waitcnt vmcnt(2)
	v_mul_f32_e32 v19, v5, v13
	v_mul_f32_e32 v13, v4, v13
	s_waitcnt vmcnt(1) lgkmcnt(0)
	v_mul_f32_e32 v20, v7, v15
	v_mul_f32_e32 v15, v6, v15
	s_waitcnt vmcnt(0)
	v_mul_f32_e32 v21, v9, v17
	v_mul_f32_e32 v17, v8, v17
	v_fmac_f32_e32 v18, v2, v10
	v_fma_f32 v10, v10, v3, -v11
	v_fmac_f32_e32 v19, v4, v12
	v_fma_f32 v11, v12, v5, -v13
	;; [unrolled: 2-line block ×4, first 2 shown]
	v_cvt_f64_f32_e32 v[2:3], v18
	v_cvt_f64_f32_e32 v[4:5], v10
	;; [unrolled: 1-line block ×8, first 2 shown]
	v_mul_f64 v[2:3], v[2:3], s[2:3]
	v_mul_f64 v[4:5], v[4:5], s[2:3]
	;; [unrolled: 1-line block ×8, first 2 shown]
	v_cvt_f32_f64_e32 v2, v[2:3]
	v_cvt_f32_f64_e32 v3, v[4:5]
	v_cvt_f32_f64_e32 v4, v[6:7]
	v_cvt_f32_f64_e32 v5, v[8:9]
	v_cvt_f32_f64_e32 v6, v[10:11]
	v_cvt_f32_f64_e32 v7, v[12:13]
	v_cvt_f32_f64_e32 v8, v[14:15]
	v_cvt_f32_f64_e32 v9, v[16:17]
	v_add_co_u32 v10, vcc_lo, v0, s4
	v_add_co_ci_u32_e32 v11, vcc_lo, s5, v1, vcc_lo
	v_add_co_u32 v12, vcc_lo, v10, s4
	v_add_co_ci_u32_e32 v13, vcc_lo, s5, v11, vcc_lo
	;; [unrolled: 2-line block ×3, first 2 shown]
	global_store_dwordx2 v[0:1], v[2:3], off
	global_store_dwordx2 v[10:11], v[4:5], off
	;; [unrolled: 1-line block ×4, first 2 shown]
.LBB0_15:
	s_endpgm
	.section	.rodata,"a",@progbits
	.p2align	6, 0x0
	.amdhsa_kernel bluestein_single_back_len484_dim1_sp_op_CI_CI
		.amdhsa_group_segment_fixed_size 3872
		.amdhsa_private_segment_fixed_size 0
		.amdhsa_kernarg_size 104
		.amdhsa_user_sgpr_count 6
		.amdhsa_user_sgpr_private_segment_buffer 1
		.amdhsa_user_sgpr_dispatch_ptr 0
		.amdhsa_user_sgpr_queue_ptr 0
		.amdhsa_user_sgpr_kernarg_segment_ptr 1
		.amdhsa_user_sgpr_dispatch_id 0
		.amdhsa_user_sgpr_flat_scratch_init 0
		.amdhsa_user_sgpr_private_segment_size 0
		.amdhsa_wavefront_size32 1
		.amdhsa_uses_dynamic_stack 0
		.amdhsa_system_sgpr_private_segment_wavefront_offset 0
		.amdhsa_system_sgpr_workgroup_id_x 1
		.amdhsa_system_sgpr_workgroup_id_y 0
		.amdhsa_system_sgpr_workgroup_id_z 0
		.amdhsa_system_sgpr_workgroup_info 0
		.amdhsa_system_vgpr_workitem_id 0
		.amdhsa_next_free_vgpr 189
		.amdhsa_next_free_sgpr 16
		.amdhsa_reserve_vcc 1
		.amdhsa_reserve_flat_scratch 0
		.amdhsa_float_round_mode_32 0
		.amdhsa_float_round_mode_16_64 0
		.amdhsa_float_denorm_mode_32 3
		.amdhsa_float_denorm_mode_16_64 3
		.amdhsa_dx10_clamp 1
		.amdhsa_ieee_mode 1
		.amdhsa_fp16_overflow 0
		.amdhsa_workgroup_processor_mode 1
		.amdhsa_memory_ordered 1
		.amdhsa_forward_progress 0
		.amdhsa_shared_vgpr_count 0
		.amdhsa_exception_fp_ieee_invalid_op 0
		.amdhsa_exception_fp_denorm_src 0
		.amdhsa_exception_fp_ieee_div_zero 0
		.amdhsa_exception_fp_ieee_overflow 0
		.amdhsa_exception_fp_ieee_underflow 0
		.amdhsa_exception_fp_ieee_inexact 0
		.amdhsa_exception_int_div_zero 0
	.end_amdhsa_kernel
	.text
.Lfunc_end0:
	.size	bluestein_single_back_len484_dim1_sp_op_CI_CI, .Lfunc_end0-bluestein_single_back_len484_dim1_sp_op_CI_CI
                                        ; -- End function
	.section	.AMDGPU.csdata,"",@progbits
; Kernel info:
; codeLenInByte = 12928
; NumSgprs: 18
; NumVgprs: 189
; ScratchSize: 0
; MemoryBound: 0
; FloatMode: 240
; IeeeMode: 1
; LDSByteSize: 3872 bytes/workgroup (compile time only)
; SGPRBlocks: 2
; VGPRBlocks: 23
; NumSGPRsForWavesPerEU: 18
; NumVGPRsForWavesPerEU: 189
; Occupancy: 5
; WaveLimiterHint : 1
; COMPUTE_PGM_RSRC2:SCRATCH_EN: 0
; COMPUTE_PGM_RSRC2:USER_SGPR: 6
; COMPUTE_PGM_RSRC2:TRAP_HANDLER: 0
; COMPUTE_PGM_RSRC2:TGID_X_EN: 1
; COMPUTE_PGM_RSRC2:TGID_Y_EN: 0
; COMPUTE_PGM_RSRC2:TGID_Z_EN: 0
; COMPUTE_PGM_RSRC2:TIDIG_COMP_CNT: 0
	.text
	.p2alignl 6, 3214868480
	.fill 48, 4, 3214868480
	.type	__hip_cuid_805ef93198c1162f,@object ; @__hip_cuid_805ef93198c1162f
	.section	.bss,"aw",@nobits
	.globl	__hip_cuid_805ef93198c1162f
__hip_cuid_805ef93198c1162f:
	.byte	0                               ; 0x0
	.size	__hip_cuid_805ef93198c1162f, 1

	.ident	"AMD clang version 19.0.0git (https://github.com/RadeonOpenCompute/llvm-project roc-6.4.0 25133 c7fe45cf4b819c5991fe208aaa96edf142730f1d)"
	.section	".note.GNU-stack","",@progbits
	.addrsig
	.addrsig_sym __hip_cuid_805ef93198c1162f
	.amdgpu_metadata
---
amdhsa.kernels:
  - .args:
      - .actual_access:  read_only
        .address_space:  global
        .offset:         0
        .size:           8
        .value_kind:     global_buffer
      - .actual_access:  read_only
        .address_space:  global
        .offset:         8
        .size:           8
        .value_kind:     global_buffer
      - .actual_access:  read_only
        .address_space:  global
        .offset:         16
        .size:           8
        .value_kind:     global_buffer
      - .actual_access:  read_only
        .address_space:  global
        .offset:         24
        .size:           8
        .value_kind:     global_buffer
      - .actual_access:  read_only
        .address_space:  global
        .offset:         32
        .size:           8
        .value_kind:     global_buffer
      - .offset:         40
        .size:           8
        .value_kind:     by_value
      - .address_space:  global
        .offset:         48
        .size:           8
        .value_kind:     global_buffer
      - .address_space:  global
        .offset:         56
        .size:           8
        .value_kind:     global_buffer
      - .address_space:  global
        .offset:         64
        .size:           8
        .value_kind:     global_buffer
      - .address_space:  global
        .offset:         72
        .size:           8
        .value_kind:     global_buffer
      - .offset:         80
        .size:           4
        .value_kind:     by_value
      - .address_space:  global
        .offset:         88
        .size:           8
        .value_kind:     global_buffer
      - .address_space:  global
        .offset:         96
        .size:           8
        .value_kind:     global_buffer
    .group_segment_fixed_size: 3872
    .kernarg_segment_align: 8
    .kernarg_segment_size: 104
    .language:       OpenCL C
    .language_version:
      - 2
      - 0
    .max_flat_workgroup_size: 44
    .name:           bluestein_single_back_len484_dim1_sp_op_CI_CI
    .private_segment_fixed_size: 0
    .sgpr_count:     18
    .sgpr_spill_count: 0
    .symbol:         bluestein_single_back_len484_dim1_sp_op_CI_CI.kd
    .uniform_work_group_size: 1
    .uses_dynamic_stack: false
    .vgpr_count:     189
    .vgpr_spill_count: 0
    .wavefront_size: 32
    .workgroup_processor_mode: 1
amdhsa.target:   amdgcn-amd-amdhsa--gfx1030
amdhsa.version:
  - 1
  - 2
...

	.end_amdgpu_metadata
